;; amdgpu-corpus repo=ROCm/rocFFT kind=compiled arch=gfx950 opt=O3
	.text
	.amdgcn_target "amdgcn-amd-amdhsa--gfx950"
	.amdhsa_code_object_version 6
	.protected	fft_rtc_back_len605_factors_11_5_11_wgs_55_tpt_55_half_ip_CI_sbrr_dirReg ; -- Begin function fft_rtc_back_len605_factors_11_5_11_wgs_55_tpt_55_half_ip_CI_sbrr_dirReg
	.globl	fft_rtc_back_len605_factors_11_5_11_wgs_55_tpt_55_half_ip_CI_sbrr_dirReg
	.p2align	8
	.type	fft_rtc_back_len605_factors_11_5_11_wgs_55_tpt_55_half_ip_CI_sbrr_dirReg,@function
fft_rtc_back_len605_factors_11_5_11_wgs_55_tpt_55_half_ip_CI_sbrr_dirReg: ; @fft_rtc_back_len605_factors_11_5_11_wgs_55_tpt_55_half_ip_CI_sbrr_dirReg
; %bb.0:
	s_load_dwordx2 s[12:13], s[0:1], 0x18
	s_load_dwordx4 s[4:7], s[0:1], 0x0
	s_load_dwordx2 s[10:11], s[0:1], 0x50
	v_mul_u32_u24_e32 v1, 0x4a8, v0
	v_add_u32_sdwa v6, s2, v1 dst_sel:DWORD dst_unused:UNUSED_PAD src0_sel:DWORD src1_sel:WORD_1
	s_waitcnt lgkmcnt(0)
	s_load_dwordx2 s[8:9], s[12:13], 0x0
	v_mov_b32_e32 v4, 0
	v_cmp_lt_u64_e64 s[2:3], s[6:7], 2
	v_mov_b32_e32 v7, v4
	s_and_b64 vcc, exec, s[2:3]
	v_mov_b64_e32 v[2:3], 0
	s_cbranch_vccnz .LBB0_8
; %bb.1:
	s_load_dwordx2 s[2:3], s[0:1], 0x10
	s_add_u32 s14, s12, 8
	s_addc_u32 s15, s13, 0
	s_mov_b64 s[16:17], 1
	v_mov_b64_e32 v[2:3], 0
	s_waitcnt lgkmcnt(0)
	s_add_u32 s18, s2, 8
	s_addc_u32 s19, s3, 0
.LBB0_2:                                ; =>This Inner Loop Header: Depth=1
	s_load_dwordx2 s[20:21], s[18:19], 0x0
                                        ; implicit-def: $vgpr8_vgpr9
	s_waitcnt lgkmcnt(0)
	v_or_b32_e32 v5, s21, v7
	v_cmp_ne_u64_e32 vcc, 0, v[4:5]
	s_and_saveexec_b64 s[2:3], vcc
	s_xor_b64 s[22:23], exec, s[2:3]
	s_cbranch_execz .LBB0_4
; %bb.3:                                ;   in Loop: Header=BB0_2 Depth=1
	v_cvt_f32_u32_e32 v1, s20
	v_cvt_f32_u32_e32 v5, s21
	s_sub_u32 s2, 0, s20
	s_subb_u32 s3, 0, s21
	v_fmac_f32_e32 v1, 0x4f800000, v5
	v_rcp_f32_e32 v1, v1
	s_nop 0
	v_mul_f32_e32 v1, 0x5f7ffffc, v1
	v_mul_f32_e32 v5, 0x2f800000, v1
	v_trunc_f32_e32 v5, v5
	v_fmac_f32_e32 v1, 0xcf800000, v5
	v_cvt_u32_f32_e32 v5, v5
	v_cvt_u32_f32_e32 v1, v1
	v_mul_lo_u32 v8, s2, v5
	v_mul_hi_u32 v10, s2, v1
	v_mul_lo_u32 v9, s3, v1
	v_add_u32_e32 v10, v10, v8
	v_mul_lo_u32 v12, s2, v1
	v_add_u32_e32 v13, v10, v9
	v_mul_hi_u32 v8, v1, v12
	v_mul_hi_u32 v11, v1, v13
	v_mul_lo_u32 v10, v1, v13
	v_mov_b32_e32 v9, v4
	v_lshl_add_u64 v[8:9], v[8:9], 0, v[10:11]
	v_mul_hi_u32 v11, v5, v12
	v_mul_lo_u32 v12, v5, v12
	v_add_co_u32_e32 v8, vcc, v8, v12
	v_mul_hi_u32 v10, v5, v13
	s_nop 0
	v_addc_co_u32_e32 v8, vcc, v9, v11, vcc
	v_mov_b32_e32 v9, v4
	s_nop 0
	v_addc_co_u32_e32 v11, vcc, 0, v10, vcc
	v_mul_lo_u32 v10, v5, v13
	v_lshl_add_u64 v[8:9], v[8:9], 0, v[10:11]
	v_add_co_u32_e32 v1, vcc, v1, v8
	v_mul_lo_u32 v10, s2, v1
	s_nop 0
	v_addc_co_u32_e32 v5, vcc, v5, v9, vcc
	v_mul_lo_u32 v8, s2, v5
	v_mul_hi_u32 v9, s2, v1
	v_add_u32_e32 v8, v9, v8
	v_mul_lo_u32 v9, s3, v1
	v_add_u32_e32 v12, v8, v9
	v_mul_hi_u32 v14, v5, v10
	v_mul_lo_u32 v15, v5, v10
	v_mul_hi_u32 v9, v1, v12
	v_mul_lo_u32 v8, v1, v12
	v_mul_hi_u32 v10, v1, v10
	v_mov_b32_e32 v11, v4
	v_lshl_add_u64 v[8:9], v[10:11], 0, v[8:9]
	v_add_co_u32_e32 v8, vcc, v8, v15
	v_mul_hi_u32 v13, v5, v12
	s_nop 0
	v_addc_co_u32_e32 v8, vcc, v9, v14, vcc
	v_mul_lo_u32 v10, v5, v12
	s_nop 0
	v_addc_co_u32_e32 v11, vcc, 0, v13, vcc
	v_mov_b32_e32 v9, v4
	v_lshl_add_u64 v[8:9], v[8:9], 0, v[10:11]
	v_add_co_u32_e32 v1, vcc, v1, v8
	v_mul_hi_u32 v10, v6, v1
	s_nop 0
	v_addc_co_u32_e32 v5, vcc, v5, v9, vcc
	v_mad_u64_u32 v[8:9], s[2:3], v6, v5, 0
	v_mov_b32_e32 v11, v4
	v_lshl_add_u64 v[8:9], v[10:11], 0, v[8:9]
	v_mad_u64_u32 v[12:13], s[2:3], v7, v1, 0
	v_add_co_u32_e32 v1, vcc, v8, v12
	v_mad_u64_u32 v[10:11], s[2:3], v7, v5, 0
	s_nop 0
	v_addc_co_u32_e32 v8, vcc, v9, v13, vcc
	v_mov_b32_e32 v9, v4
	s_nop 0
	v_addc_co_u32_e32 v11, vcc, 0, v11, vcc
	v_lshl_add_u64 v[8:9], v[8:9], 0, v[10:11]
	v_mul_lo_u32 v1, s21, v8
	v_mul_lo_u32 v5, s20, v9
	v_mad_u64_u32 v[10:11], s[2:3], s20, v8, 0
	v_add3_u32 v1, v11, v5, v1
	v_sub_u32_e32 v5, v7, v1
	v_mov_b32_e32 v11, s21
	v_sub_co_u32_e32 v14, vcc, v6, v10
	v_lshl_add_u64 v[12:13], v[8:9], 0, 1
	s_nop 0
	v_subb_co_u32_e64 v5, s[2:3], v5, v11, vcc
	v_subrev_co_u32_e64 v10, s[2:3], s20, v14
	v_subb_co_u32_e32 v1, vcc, v7, v1, vcc
	s_nop 0
	v_subbrev_co_u32_e64 v5, s[2:3], 0, v5, s[2:3]
	v_cmp_le_u32_e64 s[2:3], s21, v5
	v_cmp_le_u32_e32 vcc, s21, v1
	s_nop 0
	v_cndmask_b32_e64 v11, 0, -1, s[2:3]
	v_cmp_le_u32_e64 s[2:3], s20, v10
	s_nop 1
	v_cndmask_b32_e64 v10, 0, -1, s[2:3]
	v_cmp_eq_u32_e64 s[2:3], s21, v5
	s_nop 1
	v_cndmask_b32_e64 v5, v11, v10, s[2:3]
	v_lshl_add_u64 v[10:11], v[8:9], 0, 2
	v_cmp_ne_u32_e64 s[2:3], 0, v5
	s_nop 1
	v_cndmask_b32_e64 v5, v13, v11, s[2:3]
	v_cndmask_b32_e64 v11, 0, -1, vcc
	v_cmp_le_u32_e32 vcc, s20, v14
	s_nop 1
	v_cndmask_b32_e64 v13, 0, -1, vcc
	v_cmp_eq_u32_e32 vcc, s21, v1
	s_nop 1
	v_cndmask_b32_e32 v1, v11, v13, vcc
	v_cmp_ne_u32_e32 vcc, 0, v1
	v_cndmask_b32_e64 v1, v12, v10, s[2:3]
	s_nop 0
	v_cndmask_b32_e32 v9, v9, v5, vcc
	v_cndmask_b32_e32 v8, v8, v1, vcc
.LBB0_4:                                ;   in Loop: Header=BB0_2 Depth=1
	s_andn2_saveexec_b64 s[2:3], s[22:23]
	s_cbranch_execz .LBB0_6
; %bb.5:                                ;   in Loop: Header=BB0_2 Depth=1
	v_cvt_f32_u32_e32 v1, s20
	s_sub_i32 s22, 0, s20
	v_rcp_iflag_f32_e32 v1, v1
	s_nop 0
	v_mul_f32_e32 v1, 0x4f7ffffe, v1
	v_cvt_u32_f32_e32 v1, v1
	v_mul_lo_u32 v5, s22, v1
	v_mul_hi_u32 v5, v1, v5
	v_add_u32_e32 v1, v1, v5
	v_mul_hi_u32 v1, v6, v1
	v_mul_lo_u32 v5, v1, s20
	v_sub_u32_e32 v5, v6, v5
	v_add_u32_e32 v8, 1, v1
	v_subrev_u32_e32 v9, s20, v5
	v_cmp_le_u32_e32 vcc, s20, v5
	s_nop 1
	v_cndmask_b32_e32 v5, v5, v9, vcc
	v_cndmask_b32_e32 v1, v1, v8, vcc
	v_add_u32_e32 v8, 1, v1
	v_cmp_le_u32_e32 vcc, s20, v5
	v_mov_b32_e32 v9, v4
	s_nop 0
	v_cndmask_b32_e32 v8, v1, v8, vcc
.LBB0_6:                                ;   in Loop: Header=BB0_2 Depth=1
	s_or_b64 exec, exec, s[2:3]
	v_mad_u64_u32 v[10:11], s[2:3], v8, s20, 0
	s_load_dwordx2 s[2:3], s[14:15], 0x0
	v_mul_lo_u32 v1, v9, s20
	v_mul_lo_u32 v5, v8, s21
	v_add3_u32 v1, v11, v5, v1
	v_sub_co_u32_e32 v5, vcc, v6, v10
	s_add_u32 s16, s16, 1
	s_nop 0
	v_subb_co_u32_e32 v1, vcc, v7, v1, vcc
	s_addc_u32 s17, s17, 0
	s_waitcnt lgkmcnt(0)
	v_mul_lo_u32 v1, s2, v1
	v_mul_lo_u32 v6, s3, v5
	v_mad_u64_u32 v[2:3], s[2:3], s2, v5, v[2:3]
	s_add_u32 s14, s14, 8
	v_add3_u32 v3, v6, v3, v1
	s_addc_u32 s15, s15, 0
	v_mov_b64_e32 v[6:7], s[6:7]
	s_add_u32 s18, s18, 8
	v_cmp_ge_u64_e32 vcc, s[16:17], v[6:7]
	s_addc_u32 s19, s19, 0
	s_cbranch_vccnz .LBB0_9
; %bb.7:                                ;   in Loop: Header=BB0_2 Depth=1
	v_mov_b64_e32 v[6:7], v[8:9]
	s_branch .LBB0_2
.LBB0_8:
	v_mov_b64_e32 v[8:9], v[6:7]
.LBB0_9:
	s_lshl_b64 s[2:3], s[6:7], 3
	s_add_u32 s2, s12, s2
	s_addc_u32 s3, s13, s3
	s_load_dwordx2 s[6:7], s[2:3], 0x0
	s_load_dwordx2 s[12:13], s[0:1], 0x20
	s_mov_b32 s2, 0x4a7904b
                                        ; implicit-def: $vgpr16
	s_waitcnt lgkmcnt(0)
	v_mul_lo_u32 v1, s6, v9
	v_mul_lo_u32 v4, s7, v8
	v_mad_u64_u32 v[2:3], s[0:1], s6, v8, v[2:3]
	v_add3_u32 v3, v4, v3, v1
	v_mul_hi_u32 v1, v0, s2
	v_mul_u32_u24_e32 v1, 55, v1
	v_sub_u32_e32 v15, v0, v1
	v_cmp_gt_u64_e32 vcc, s[12:13], v[8:9]
	v_cmp_le_u64_e64 s[0:1], s[12:13], v[8:9]
	v_add_u32_e32 v17, 55, v15
                                        ; implicit-def: $sgpr2
	s_and_saveexec_b64 s[6:7], s[0:1]
	s_xor_b64 s[0:1], exec, s[6:7]
; %bb.10:
	v_add_u32_e32 v17, 55, v15
	v_add_u32_e32 v16, 0x6e, v15
	s_mov_b32 s2, 0
; %bb.11:
	s_or_saveexec_b64 s[0:1], s[0:1]
	v_mov_b32_e32 v14, s2
	v_lshl_add_u64 v[0:1], v[2:3], 2, s[10:11]
	v_mov_b32_e32 v23, s2
                                        ; implicit-def: $vgpr24
                                        ; implicit-def: $vgpr20
                                        ; implicit-def: $vgpr19
                                        ; implicit-def: $vgpr11
                                        ; implicit-def: $vgpr12
                                        ; implicit-def: $vgpr8
                                        ; implicit-def: $vgpr9
                                        ; implicit-def: $vgpr4
                                        ; implicit-def: $vgpr5
                                        ; implicit-def: $vgpr2
                                        ; implicit-def: $vgpr26
                                        ; implicit-def: $vgpr25
                                        ; implicit-def: $vgpr22
                                        ; implicit-def: $vgpr21
                                        ; implicit-def: $vgpr18
                                        ; implicit-def: $vgpr13
                                        ; implicit-def: $vgpr10
                                        ; implicit-def: $vgpr7
                                        ; implicit-def: $vgpr6
                                        ; implicit-def: $vgpr3
	s_xor_b64 exec, exec, s[0:1]
	s_cbranch_execz .LBB0_13
; %bb.12:
	v_mad_u64_u32 v[18:19], s[2:3], s8, v15, 0
	v_mov_b32_e32 v2, v19
	v_mad_u64_u32 v[2:3], s[2:3], s9, v15, v[2:3]
	v_mov_b32_e32 v19, v2
	;; [unrolled: 2-line block ×4, first 2 shown]
	v_add_u32_e32 v16, 0x6e, v15
	v_lshl_add_u64 v[12:13], v[2:3], 2, v[0:1]
	v_mad_u64_u32 v[2:3], s[2:3], s8, v16, 0
	v_mov_b32_e32 v4, v3
	v_mad_u64_u32 v[4:5], s[2:3], s9, v16, v[4:5]
	v_mov_b32_e32 v3, v4
	v_add_u32_e32 v5, 0xa5, v15
	v_lshl_add_u64 v[22:23], v[2:3], 2, v[0:1]
	v_mad_u64_u32 v[2:3], s[2:3], s8, v5, 0
	v_mov_b32_e32 v4, v3
	v_mad_u64_u32 v[4:5], s[2:3], s9, v5, v[4:5]
	v_mov_b32_e32 v3, v4
	;; [unrolled: 6-line block ×6, first 2 shown]
	v_lshl_add_u64 v[32:33], v[2:3], 2, v[0:1]
	global_load_dword v20, v[12:13], off
	global_load_dword v11, v[22:23], off
	;; [unrolled: 1-line block ×7, first 2 shown]
	v_add_u32_e32 v5, 0x1b8, v15
	v_mad_u64_u32 v[12:13], s[2:3], s8, v5, 0
	v_mov_b32_e32 v6, v13
	v_lshl_add_u64 v[18:19], v[18:19], 2, v[0:1]
	v_mov_b32_e32 v14, v15
	s_waitcnt vmcnt(3)
	v_lshrrev_b32_e32 v9, 16, v4
	s_waitcnt vmcnt(0)
	v_mad_u64_u32 v[22:23], s[2:3], s9, v5, v[6:7]
	v_mov_b32_e32 v13, v22
	v_add_u32_e32 v5, 0x1ef, v15
	v_lshl_add_u64 v[22:23], v[12:13], 2, v[0:1]
	v_mad_u64_u32 v[12:13], s[2:3], s8, v5, 0
	v_mov_b32_e32 v6, v13
	v_mad_u64_u32 v[24:25], s[2:3], s9, v5, v[6:7]
	v_mov_b32_e32 v13, v24
	v_add_u32_e32 v5, 0x226, v15
	v_lshl_add_u64 v[26:27], v[12:13], 2, v[0:1]
	v_mad_u64_u32 v[12:13], s[2:3], s8, v5, 0
	v_mov_b32_e32 v6, v13
	v_mad_u64_u32 v[24:25], s[2:3], s9, v5, v[6:7]
	v_mov_b32_e32 v13, v24
	v_lshl_add_u64 v[28:29], v[12:13], 2, v[0:1]
	global_load_dword v13, v[22:23], off
	global_load_dword v21, v[26:27], off
	;; [unrolled: 1-line block ×3, first 2 shown]
	v_lshrrev_b32_e32 v24, 16, v20
	global_load_dword v23, v[18:19], off
	v_lshrrev_b32_e32 v19, 16, v11
	v_lshrrev_b32_e32 v12, 16, v8
	;; [unrolled: 1-line block ×5, first 2 shown]
	s_waitcnt vmcnt(3)
	v_lshrrev_b32_e32 v18, 16, v13
	s_waitcnt vmcnt(2)
	v_lshrrev_b32_e32 v22, 16, v21
	;; [unrolled: 2-line block ×3, first 2 shown]
.LBB0_13:
	s_or_b64 exec, exec, s[0:1]
	s_waitcnt vmcnt(0)
	v_add_f16_e32 v27, v20, v23
	v_add_f16_sdwa v28, v24, v23 dst_sel:DWORD dst_unused:UNUSED_PAD src0_sel:DWORD src1_sel:WORD_1
	v_add_f16_e32 v27, v11, v27
	v_add_f16_e32 v28, v19, v28
	;; [unrolled: 1-line block ×17, first 2 shown]
	v_add_f16_sdwa v28, v26, v28 dst_sel:WORD_1 dst_unused:UNUSED_PAD src0_sel:DWORD src1_sel:DWORD
	v_add_f16_e32 v29, v24, v26
	v_or_b32_e32 v27, v28, v27
	v_add_f16_e32 v28, v20, v25
	v_sub_f16_e32 v20, v20, v25
	v_sub_f16_e32 v24, v24, v26
	v_mul_f16_e32 v25, 0xb853, v24
	s_movk_i32 s2, 0x3abb
	v_mul_f16_e32 v30, 0xb853, v20
	v_mul_f16_e32 v32, 0xbb47, v24
	s_movk_i32 s0, 0x36a6
	v_mul_f16_e32 v34, 0xbb47, v20
	v_mul_f16_e32 v36, 0xbbeb, v24
	s_mov_b32 s1, 0xb08e
	v_mul_f16_e32 v38, 0xbbeb, v20
	v_mul_f16_e32 v40, 0xba0c, v24
	s_mov_b32 s3, 0xb93d
	;; [unrolled: 3-line block ×3, first 2 shown]
	v_mul_f16_e32 v20, 0xb482, v20
	v_fma_f16 v26, v28, s2, v25
	v_fma_f16 v31, v29, s2, -v30
	v_fma_f16 v25, v28, s2, -v25
	v_fma_f16 v30, v29, s2, v30
	v_fma_f16 v33, v28, s0, v32
	v_fma_f16 v35, v29, s0, -v34
	v_fma_f16 v32, v28, s0, -v32
	v_fma_f16 v34, v29, s0, v34
	;; [unrolled: 4-line block ×5, first 2 shown]
	v_add_f16_e32 v28, v19, v22
	v_sub_f16_e32 v19, v19, v22
	v_add_f16_e32 v26, v26, v23
	v_add_f16_sdwa v31, v31, v23 dst_sel:DWORD dst_unused:UNUSED_PAD src0_sel:DWORD src1_sel:WORD_1
	v_add_f16_e32 v25, v25, v23
	v_add_f16_sdwa v30, v30, v23 dst_sel:DWORD dst_unused:UNUSED_PAD src0_sel:DWORD src1_sel:WORD_1
	;; [unrolled: 2-line block ×10, first 2 shown]
	v_add_f16_e32 v23, v11, v21
	v_sub_f16_e32 v11, v11, v21
	v_mul_f16_e32 v21, 0xbb47, v19
	v_fma_f16 v22, v23, s0, v21
	v_add_f16_e32 v22, v22, v26
	v_mul_f16_e32 v26, 0xbb47, v11
	v_fma_f16 v21, v23, s0, -v21
	v_fma_f16 v29, v28, s0, -v26
	v_add_f16_e32 v21, v21, v25
	v_fma_f16 v25, v28, s0, v26
	v_mul_f16_e32 v26, 0xba0c, v19
	v_add_f16_e32 v29, v29, v31
	v_add_f16_e32 v25, v25, v30
	v_fma_f16 v30, v23, s3, v26
	v_mul_f16_e32 v31, 0xba0c, v11
	v_fma_f16 v26, v23, s3, -v26
	v_add_f16_e32 v30, v30, v33
	v_fma_f16 v33, v28, s3, -v31
	v_add_f16_e32 v26, v26, v32
	v_fma_f16 v31, v28, s3, v31
	v_mul_f16_e32 v32, 0x3482, v19
	v_add_f16_e32 v33, v33, v35
	v_add_f16_e32 v31, v31, v34
	v_fma_f16 v34, v23, s6, v32
	v_mul_f16_e32 v35, 0x3482, v11
	v_fma_f16 v32, v23, s6, -v32
	v_add_f16_e32 v34, v34, v37
	v_fma_f16 v37, v28, s6, -v35
	v_add_f16_e32 v32, v32, v36
	v_fma_f16 v35, v28, s6, v35
	v_mul_f16_e32 v36, 0x3beb, v19
	v_add_f16_e32 v37, v37, v39
	v_add_f16_e32 v35, v35, v38
	v_fma_f16 v38, v23, s1, v36
	v_mul_f16_e32 v39, 0x3beb, v11
	v_add_f16_e32 v38, v38, v41
	v_fma_f16 v41, v28, s1, -v39
	v_fma_f16 v36, v23, s1, -v36
	v_fma_f16 v39, v28, s1, v39
	v_mul_f16_e32 v19, 0x3853, v19
	v_mul_f16_e32 v11, 0x3853, v11
	v_add_f16_e32 v36, v36, v40
	v_add_f16_e32 v39, v39, v42
	v_fma_f16 v40, v23, s2, v19
	v_fma_f16 v42, v28, s2, -v11
	v_fma_f16 v19, v23, s2, -v19
	v_fma_f16 v11, v28, s2, v11
	v_add_f16_e32 v23, v12, v18
	v_sub_f16_e32 v12, v12, v18
	v_add_f16_e32 v11, v11, v20
	v_add_f16_e32 v20, v8, v13
	v_sub_f16_e32 v8, v8, v13
	v_mul_f16_e32 v13, 0xbbeb, v12
	v_fma_f16 v18, v20, s1, v13
	v_add_f16_e32 v18, v18, v22
	v_mul_f16_e32 v22, 0xbbeb, v8
	v_fma_f16 v13, v20, s1, -v13
	v_add_f16_e32 v19, v19, v24
	v_fma_f16 v24, v23, s1, -v22
	v_add_f16_e32 v13, v13, v21
	v_fma_f16 v21, v23, s1, v22
	v_mul_f16_e32 v22, 0x3482, v12
	v_add_f16_e32 v21, v21, v25
	v_fma_f16 v25, v20, s6, v22
	v_mul_f16_e32 v28, 0x3482, v8
	v_fma_f16 v22, v20, s6, -v22
	v_add_f16_e32 v24, v24, v29
	v_fma_f16 v29, v23, s6, -v28
	v_add_f16_e32 v22, v22, v26
	v_fma_f16 v26, v23, s6, v28
	v_mul_f16_e32 v28, 0x3b47, v12
	v_add_f16_e32 v25, v25, v30
	v_add_f16_e32 v26, v26, v31
	v_fma_f16 v30, v20, s0, v28
	v_mul_f16_e32 v31, 0x3b47, v8
	v_fma_f16 v28, v20, s0, -v28
	v_add_f16_e32 v29, v29, v33
	v_fma_f16 v33, v23, s0, -v31
	v_add_f16_e32 v28, v28, v32
	v_fma_f16 v31, v23, s0, v31
	v_mul_f16_e32 v32, 0xb853, v12
	v_add_f16_e32 v30, v30, v34
	v_add_f16_e32 v31, v31, v35
	v_fma_f16 v34, v20, s2, v32
	v_mul_f16_e32 v35, 0xb853, v8
	v_mul_f16_e32 v8, 0xba0c, v8
	v_add_f16_e32 v34, v34, v38
	v_fma_f16 v32, v20, s2, -v32
	v_mul_f16_e32 v12, 0xba0c, v12
	v_fma_f16 v38, v23, s3, -v8
	v_fma_f16 v8, v23, s3, v8
	v_add_f16_e32 v32, v32, v36
	v_fma_f16 v36, v20, s3, v12
	v_fma_f16 v12, v20, s3, -v12
	v_add_f16_e32 v8, v8, v11
	v_add_f16_e32 v11, v4, v7
	v_sub_f16_e32 v4, v4, v7
	v_sub_f16_e32 v7, v9, v10
	v_add_f16_e32 v12, v12, v19
	v_add_f16_e32 v19, v9, v10
	v_mul_f16_e32 v9, 0xba0c, v7
	v_fma_f16 v10, v11, s3, v9
	v_add_f16_e32 v10, v10, v18
	v_mul_f16_e32 v18, 0xba0c, v4
	v_fma_f16 v9, v11, s3, -v9
	v_fma_f16 v20, v19, s3, -v18
	v_add_f16_e32 v9, v9, v13
	v_fma_f16 v13, v19, s3, v18
	v_mul_f16_e32 v18, 0x3beb, v7
	v_add_f16_e32 v13, v13, v21
	v_fma_f16 v21, v11, s1, v18
	v_add_f16_e32 v33, v33, v37
	v_fma_f16 v37, v23, s2, -v35
	v_fma_f16 v35, v23, s2, v35
	v_add_f16_e32 v23, v21, v25
	v_mul_f16_e32 v21, 0x3beb, v4
	v_add_f16_e32 v20, v20, v24
	v_fma_f16 v24, v19, s1, -v21
	v_fma_f16 v21, v19, s1, v21
	v_fma_f16 v18, v11, s1, -v18
	v_add_f16_e32 v25, v21, v26
	v_mul_f16_e32 v21, 0xb853, v7
	v_add_f16_e32 v18, v18, v22
	v_fma_f16 v22, v11, s2, v21
	v_add_f16_e32 v26, v22, v30
	v_mul_f16_e32 v22, 0xb853, v4
	v_fma_f16 v21, v11, s2, -v21
	v_add_f16_e32 v28, v21, v28
	v_fma_f16 v21, v19, s2, v22
	v_add_f16_e32 v30, v21, v31
	v_mul_f16_e32 v21, 0xb482, v7
	v_add_f16_e32 v24, v24, v29
	v_fma_f16 v29, v19, s2, -v22
	v_fma_f16 v22, v11, s6, v21
	v_add_f16_e32 v31, v22, v34
	v_mul_f16_e32 v22, 0xb482, v4
	v_fma_f16 v21, v11, s6, -v21
	v_add_f16_e32 v40, v40, v44
	v_add_f16_e32 v35, v35, v39
	;; [unrolled: 1-line block ×3, first 2 shown]
	v_fma_f16 v21, v19, s6, v22
	v_mul_f16_e32 v7, 0x3b47, v7
	v_add_f16_e32 v36, v36, v40
	v_add_f16_e32 v34, v21, v35
	v_fma_f16 v21, v11, s0, v7
	v_mul_f16_e32 v4, 0x3b47, v4
	v_add_f16_e32 v35, v21, v36
	v_fma_f16 v21, v19, s0, -v4
	v_fma_f16 v4, v19, s0, v4
	v_add_f16_e32 v4, v4, v8
	v_add_f16_e32 v8, v2, v3
	v_sub_f16_e32 v2, v2, v3
	v_sub_f16_e32 v3, v5, v6
	v_fma_f16 v7, v11, s0, -v7
	v_add_f16_e32 v11, v5, v6
	v_mul_f16_e32 v5, 0xb482, v3
	v_add_f16_e32 v42, v42, v45
	v_fma_f16 v6, v8, s6, v5
	v_add_f16_e32 v38, v38, v42
	v_add_f16_e32 v6, v6, v10
	v_mul_f16_e32 v10, 0xb482, v2
	v_fma_f16 v5, v8, s6, -v5
	v_add_f16_e32 v36, v21, v38
	v_add_f16_e32 v21, v5, v9
	v_fma_f16 v5, v11, s6, v10
	v_add_f16_e32 v29, v29, v33
	v_fma_f16 v33, v19, s6, -v22
	v_add_f16_e32 v22, v5, v13
	v_mul_f16_e32 v5, 0x3853, v3
	v_fma_f16 v9, v8, s2, v5
	v_fma_f16 v5, v8, s2, -v5
	v_add_f16_e32 v7, v7, v12
	v_fma_f16 v12, v11, s6, -v10
	v_mul_f16_e32 v10, 0x3853, v2
	v_add_f16_e32 v5, v5, v18
	v_mul_f16_e32 v18, 0xba0c, v3
	v_add_f16_e32 v12, v12, v20
	v_fma_f16 v13, v11, s2, -v10
	v_fma_f16 v19, v8, s3, v18
	v_mul_f16_e32 v20, 0xba0c, v2
	v_add_f16_e32 v9, v9, v23
	v_add_f16_e32 v13, v13, v24
	;; [unrolled: 1-line block ×3, first 2 shown]
	v_fma_f16 v23, v11, s3, -v20
	v_fma_f16 v20, v11, s3, v20
	v_mul_f16_e32 v24, 0x3b47, v3
	v_mul_f16_e32 v26, 0x3b47, v2
	;; [unrolled: 1-line block ×4, first 2 shown]
	v_fma_f16 v10, v11, s2, v10
	v_add_f16_e32 v23, v23, v29
	v_fma_f16 v18, v8, s3, -v18
	v_add_f16_e32 v20, v20, v30
	v_fma_f16 v29, v8, s1, v3
	v_fma_f16 v30, v11, s1, -v2
	v_fma_f16 v3, v8, s1, -v3
	v_fma_f16 v2, v11, s1, v2
	v_add_f16_e32 v10, v10, v25
	v_add_f16_e32 v18, v18, v28
	v_fma_f16 v25, v8, s0, v24
	v_fma_f16 v28, v11, s0, -v26
	v_fma_f16 v24, v8, s0, -v24
	v_fma_f16 v26, v11, s0, v26
	v_add_f16_e32 v29, v29, v35
	v_add_f16_e32 v30, v30, v36
	;; [unrolled: 1-line block ×7, first 2 shown]
	v_mad_u32_u24 v4, v15, 44, 0
	v_pack_b32_f16 v2, v3, v2
	v_pack_b32_f16 v3, v29, v30
	v_add_f16_e32 v37, v37, v41
	ds_write2_b32 v4, v3, v2 offset0:5 offset1:6
	v_pack_b32_f16 v2, v18, v20
	v_pack_b32_f16 v3, v24, v26
	v_add_f16_e32 v33, v33, v37
	ds_write2_b32 v4, v3, v2 offset0:7 offset1:8
	v_pack_b32_f16 v2, v21, v22
	v_pack_b32_f16 v3, v5, v10
	s_movk_i32 s0, 0xffd8
	v_add_f16_e32 v25, v25, v31
	v_add_f16_e32 v28, v28, v33
	v_pack_b32_f16 v7, v9, v13
	v_pack_b32_f16 v6, v6, v12
	ds_write2_b32 v4, v3, v2 offset0:9 offset1:10
	v_mad_i32_i24 v2, v15, s0, v4
	ds_write2_b32 v4, v6, v7 offset0:1 offset1:2
	v_pack_b32_f16 v6, v25, v28
	v_pack_b32_f16 v7, v19, v23
	v_add_u32_e32 v3, 0x400, v2
	v_lshl_add_u32 v19, v17, 2, 0
	ds_write_b32 v4, v27
	ds_write2_b32 v4, v7, v6 offset0:3 offset1:4
	s_waitcnt lgkmcnt(0)
	; wave barrier
	s_waitcnt lgkmcnt(0)
	ds_read2_b32 v[6:7], v2 offset1:121
	ds_read2_b32 v[8:9], v2 offset0:176 offset1:242
	ds_read2_b32 v[10:11], v3 offset0:41 offset1:107
	ds_read2_b32 v[12:13], v3 offset0:162 offset1:228
	ds_read_b32 v27, v19
	ds_read_b32 v28, v2 offset:2156
	v_mul_i32_i24_e32 v2, 0xffffffd8, v15
	v_cmp_gt_u32_e64 s[0:1], 11, v15
	v_add_u32_e32 v18, v4, v2
	v_lshl_add_u32 v20, v16, 2, 0
                                        ; implicit-def: $vgpr23
                                        ; implicit-def: $vgpr5
                                        ; implicit-def: $vgpr24
                                        ; implicit-def: $vgpr25
                                        ; implicit-def: $vgpr3
                                        ; implicit-def: $vgpr26
	s_and_saveexec_b64 s[2:3], s[0:1]
	s_cbranch_execz .LBB0_15
; %bb.14:
	v_add_u32_e32 v2, 0x200, v18
	v_add_u32_e32 v4, 0x600, v18
	ds_read_b32 v21, v20
	ds_read2_b32 v[2:3], v2 offset0:103 offset1:224
	ds_read2_b32 v[4:5], v4 offset0:89 offset1:210
	s_waitcnt lgkmcnt(2)
	v_lshrrev_b32_e32 v22, 16, v21
	s_waitcnt lgkmcnt(1)
	v_lshrrev_b32_e32 v26, 16, v2
	v_lshrrev_b32_e32 v25, 16, v3
	s_waitcnt lgkmcnt(0)
	v_lshrrev_b32_e32 v24, 16, v4
	v_lshrrev_b32_e32 v23, 16, v5
.LBB0_15:
	s_or_b64 exec, exec, s[2:3]
	s_movk_i32 s13, 0x75
	v_mul_lo_u16_sdwa v29, v15, s13 dst_sel:DWORD dst_unused:UNUSED_PAD src0_sel:BYTE_0 src1_sel:DWORD
	v_sub_u16_sdwa v30, v15, v29 dst_sel:DWORD dst_unused:UNUSED_PAD src0_sel:DWORD src1_sel:BYTE_1
	v_lshrrev_b16_e32 v30, 1, v30
	v_mul_lo_u16_sdwa v35, v17, s13 dst_sel:DWORD dst_unused:UNUSED_PAD src0_sel:BYTE_0 src1_sel:DWORD
	v_and_b32_e32 v30, 0x7f, v30
	v_sub_u16_sdwa v36, v17, v35 dst_sel:DWORD dst_unused:UNUSED_PAD src0_sel:DWORD src1_sel:BYTE_1
	v_add_u16_sdwa v29, v30, v29 dst_sel:DWORD dst_unused:UNUSED_PAD src0_sel:DWORD src1_sel:BYTE_1
	v_lshrrev_b16_e32 v36, 1, v36
	v_lshrrev_b16_e32 v29, 3, v29
	v_and_b32_e32 v36, 0x7f, v36
	v_mul_lo_u16_e32 v30, 11, v29
	v_add_u16_sdwa v35, v36, v35 dst_sel:DWORD dst_unused:UNUSED_PAD src0_sel:DWORD src1_sel:BYTE_1
	v_sub_u16_e32 v38, v15, v30
	v_mov_b32_e32 v34, 4
	v_lshrrev_b16_e32 v39, 3, v35
	v_lshlrev_b32_sdwa v30, v34, v38 dst_sel:DWORD dst_unused:UNUSED_PAD src0_sel:DWORD src1_sel:BYTE_0
	v_mul_lo_u16_e32 v35, 11, v39
	global_load_dwordx4 v[30:33], v30, s[4:5]
	v_sub_u16_e32 v17, v17, v35
	v_lshlrev_b32_sdwa v34, v34, v17 dst_sel:DWORD dst_unused:UNUSED_PAD src0_sel:DWORD src1_sel:BYTE_0
	global_load_dwordx4 v[34:37], v34, s[4:5]
	s_waitcnt lgkmcnt(4)
	v_lshrrev_b32_e32 v44, 16, v9
	s_waitcnt lgkmcnt(3)
	v_lshrrev_b32_e32 v45, 16, v11
	v_lshrrev_b32_e32 v43, 16, v7
	s_waitcnt lgkmcnt(2)
	v_lshrrev_b32_e32 v46, 16, v13
	v_mov_b32_e32 v50, 2
	v_lshrrev_b32_e32 v48, 16, v10
	v_lshlrev_b32_sdwa v38, v50, v38 dst_sel:DWORD dst_unused:UNUSED_PAD src0_sel:DWORD src1_sel:BYTE_0
	v_lshlrev_b32_sdwa v17, v50, v17 dst_sel:DWORD dst_unused:UNUSED_PAD src0_sel:DWORD src1_sel:BYTE_0
	s_waitcnt lgkmcnt(0)
	v_lshrrev_b32_e32 v42, 16, v28
	v_lshrrev_b32_e32 v47, 16, v8
	;; [unrolled: 1-line block ×3, first 2 shown]
	s_mov_b32 s10, 0xbb9c
	s_movk_i32 s12, 0x3b9c
	v_lshrrev_b32_e32 v40, 16, v6
	s_mov_b32 s7, 0xb8b4
	s_movk_i32 s11, 0x38b4
	s_movk_i32 s6, 0x34f2
	v_lshrrev_b32_e32 v41, 16, v27
	s_waitcnt lgkmcnt(0)
	; wave barrier
	s_waitcnt vmcnt(1)
	v_mul_f16_sdwa v52, v31, v44 dst_sel:DWORD dst_unused:UNUSED_PAD src0_sel:WORD_1 src1_sel:DWORD
	v_mul_f16_sdwa v54, v32, v45 dst_sel:DWORD dst_unused:UNUSED_PAD src0_sel:WORD_1 src1_sel:DWORD
	;; [unrolled: 1-line block ×8, first 2 shown]
	v_fma_f16 v9, v31, v9, v52
	v_fma_f16 v11, v32, v11, v54
	s_waitcnt vmcnt(0)
	v_mul_f16_sdwa v60, v35, v48 dst_sel:DWORD dst_unused:UNUSED_PAD src0_sel:WORD_1 src1_sel:DWORD
	v_mul_f16_sdwa v61, v35, v10 dst_sel:DWORD dst_unused:UNUSED_PAD src0_sel:WORD_1 src1_sel:DWORD
	v_fma_f16 v7, v30, v7, v50
	v_fma_f16 v30, v30, v43, -v51
	v_fma_f16 v13, v33, v13, v56
	v_fma_f16 v33, v33, v46, -v57
	v_add_f16_e32 v43, v9, v11
	v_mul_f16_sdwa v58, v34, v47 dst_sel:DWORD dst_unused:UNUSED_PAD src0_sel:WORD_1 src1_sel:DWORD
	v_mul_f16_sdwa v59, v34, v8 dst_sel:DWORD dst_unused:UNUSED_PAD src0_sel:WORD_1 src1_sel:DWORD
	;; [unrolled: 1-line block ×4, first 2 shown]
	v_mul_f16_sdwa v64, v42, v37 dst_sel:DWORD dst_unused:UNUSED_PAD src0_sel:DWORD src1_sel:WORD_1
	v_mul_f16_sdwa v65, v28, v37 dst_sel:DWORD dst_unused:UNUSED_PAD src0_sel:DWORD src1_sel:WORD_1
	v_fma_f16 v31, v31, v44, -v53
	v_fma_f16 v32, v32, v45, -v55
	v_fma_f16 v10, v35, v10, v60
	v_fma_f16 v35, v35, v48, -v61
	v_sub_f16_e32 v44, v30, v33
	v_add_f16_e32 v48, v7, v13
	v_fma_f16 v43, v43, -0.5, v6
	v_fma_f16 v8, v34, v8, v58
	v_fma_f16 v34, v34, v47, -v59
	v_fma_f16 v12, v36, v12, v62
	v_fma_f16 v36, v36, v49, -v63
	;; [unrolled: 2-line block ×3, first 2 shown]
	v_add_f16_e32 v42, v6, v7
	v_sub_f16_e32 v45, v31, v32
	v_sub_f16_e32 v46, v7, v9
	;; [unrolled: 1-line block ×5, first 2 shown]
	v_fma_f16 v6, v48, -0.5, v6
	v_fma_f16 v48, v44, s10, v43
	v_fma_f16 v43, v44, s12, v43
	v_add_f16_e32 v42, v42, v9
	v_add_f16_e32 v46, v46, v47
	;; [unrolled: 1-line block ×3, first 2 shown]
	v_fma_f16 v49, v45, s12, v6
	v_fma_f16 v48, v45, s7, v48
	;; [unrolled: 1-line block ×4, first 2 shown]
	v_add_f16_e32 v45, v31, v32
	v_add_f16_e32 v42, v42, v11
	v_fma_f16 v45, v45, -0.5, v40
	v_sub_f16_e32 v7, v7, v13
	v_add_f16_e32 v42, v42, v13
	v_fma_f16 v49, v44, s7, v49
	v_fma_f16 v6, v44, s11, v6
	;; [unrolled: 1-line block ×3, first 2 shown]
	v_sub_f16_e32 v9, v9, v11
	v_fma_f16 v48, v46, s6, v48
	v_fma_f16 v43, v46, s6, v43
	;; [unrolled: 1-line block ×5, first 2 shown]
	v_sub_f16_e32 v13, v30, v31
	v_sub_f16_e32 v47, v33, v32
	v_fma_f16 v45, v7, s10, v45
	v_add_f16_e32 v13, v13, v47
	v_fma_f16 v45, v9, s7, v45
	v_fma_f16 v11, v13, s6, v11
	;; [unrolled: 1-line block ×3, first 2 shown]
	v_add_f16_e32 v45, v30, v33
	v_add_f16_e32 v44, v40, v30
	v_fma_f16 v40, v45, -0.5, v40
	v_add_f16_e32 v44, v44, v31
	v_fma_f16 v45, v9, s10, v40
	v_sub_f16_e32 v30, v31, v30
	v_sub_f16_e32 v31, v32, v33
	v_fma_f16 v9, v9, s12, v40
	v_fma_f16 v45, v7, s11, v45
	v_add_f16_e32 v30, v30, v31
	v_fma_f16 v7, v7, s7, v9
	v_fma_f16 v31, v30, s6, v45
	;; [unrolled: 1-line block ×3, first 2 shown]
	v_add_f16_e32 v30, v10, v12
	v_add_f16_e32 v44, v44, v32
	v_fma_f16 v30, v30, -0.5, v27
	v_sub_f16_e32 v32, v34, v37
	v_add_f16_e32 v44, v44, v33
	v_fma_f16 v33, v32, s10, v30
	v_sub_f16_e32 v40, v35, v36
	v_sub_f16_e32 v45, v8, v10
	;; [unrolled: 1-line block ×3, first 2 shown]
	v_fma_f16 v30, v32, s12, v30
	v_fma_f16 v33, v40, s7, v33
	v_add_f16_e32 v45, v45, v47
	v_fma_f16 v30, v40, s11, v30
	v_fma_f16 v33, v45, s6, v33
	;; [unrolled: 1-line block ×3, first 2 shown]
	v_add_f16_e32 v45, v8, v28
	v_add_f16_e32 v9, v27, v8
	v_fma_f16 v27, v45, -0.5, v27
	v_add_f16_e32 v9, v9, v10
	v_fma_f16 v45, v40, s12, v27
	v_fma_f16 v27, v40, s10, v27
	v_add_f16_e32 v40, v35, v36
	v_add_f16_e32 v9, v9, v12
	v_sub_f16_e32 v47, v10, v8
	v_sub_f16_e32 v49, v12, v28
	v_fma_f16 v40, v40, -0.5, v41
	v_sub_f16_e32 v8, v8, v28
	v_add_f16_e32 v9, v9, v28
	v_fma_f16 v45, v32, s7, v45
	v_add_f16_e32 v47, v47, v49
	v_fma_f16 v27, v32, s11, v27
	v_fma_f16 v28, v8, s12, v40
	v_sub_f16_e32 v10, v10, v12
	v_fma_f16 v45, v47, s6, v45
	v_fma_f16 v27, v47, s6, v27
	;; [unrolled: 1-line block ×3, first 2 shown]
	v_sub_f16_e32 v28, v34, v35
	v_sub_f16_e32 v47, v37, v36
	v_fma_f16 v40, v8, s10, v40
	v_add_f16_e32 v28, v28, v47
	v_fma_f16 v40, v10, s7, v40
	v_fma_f16 v12, v28, s6, v12
	;; [unrolled: 1-line block ×3, first 2 shown]
	v_add_f16_e32 v40, v34, v37
	v_fma_f16 v40, v40, -0.5, v41
	v_add_f16_e32 v32, v41, v34
	v_fma_f16 v41, v10, s10, v40
	v_fma_f16 v10, v10, s12, v40
	;; [unrolled: 1-line block ×4, first 2 shown]
	v_mul_u32_u24_e32 v10, 0xdc, v29
	v_add3_u32 v10, 0, v10, v38
	v_pack_b32_f16 v29, v42, v44
	v_pack_b32_f16 v11, v48, v11
	v_add_f16_e32 v32, v32, v35
	ds_write2_b32 v10, v29, v11 offset1:11
	v_pack_b32_f16 v11, v46, v31
	v_pack_b32_f16 v6, v6, v7
	v_add_f16_e32 v32, v32, v36
	v_sub_f16_e32 v34, v35, v34
	v_sub_f16_e32 v35, v36, v37
	ds_write2_b32 v10, v11, v6 offset0:22 offset1:33
	v_pack_b32_f16 v6, v43, v13
	v_add_f16_e32 v32, v32, v37
	v_add_f16_e32 v34, v34, v35
	ds_write_b32 v10, v6 offset:176
	v_mul_u32_u24_e32 v6, 0xdc, v39
	v_fma_f16 v35, v34, s6, v41
	v_fma_f16 v8, v34, s6, v8
	v_add3_u32 v6, 0, v6, v17
	v_pack_b32_f16 v7, v9, v32
	v_pack_b32_f16 v9, v33, v12
	ds_write2_b32 v6, v7, v9 offset1:11
	v_pack_b32_f16 v7, v45, v35
	v_pack_b32_f16 v8, v27, v8
	ds_write2_b32 v6, v7, v8 offset0:22 offset1:33
	v_pack_b32_f16 v7, v30, v28
	ds_write_b32 v6, v7 offset:176
	s_and_saveexec_b64 s[2:3], s[0:1]
	s_cbranch_execz .LBB0_17
; %bb.16:
	v_mul_lo_u16_sdwa v6, v16, s13 dst_sel:DWORD dst_unused:UNUSED_PAD src0_sel:BYTE_0 src1_sel:DWORD
	v_sub_u16_sdwa v7, v16, v6 dst_sel:DWORD dst_unused:UNUSED_PAD src0_sel:DWORD src1_sel:BYTE_1
	v_lshrrev_b16_e32 v7, 1, v7
	v_and_b32_e32 v7, 0x7f, v7
	v_add_u16_sdwa v6, v7, v6 dst_sel:DWORD dst_unused:UNUSED_PAD src0_sel:DWORD src1_sel:BYTE_1
	v_lshrrev_b16_e32 v6, 3, v6
	v_mul_lo_u16_e32 v6, 11, v6
	v_sub_u16_e32 v6, v16, v6
	v_and_b32_e32 v10, 0xff, v6
	v_lshlrev_b32_e32 v6, 4, v10
	global_load_dwordx4 v[6:9], v6, s[4:5]
	v_lshl_add_u32 v10, v10, 2, 0
	v_add_u32_e32 v11, 0x800, v10
	s_waitcnt vmcnt(0)
	v_mul_f16_sdwa v12, v3, v7 dst_sel:DWORD dst_unused:UNUSED_PAD src0_sel:DWORD src1_sel:WORD_1
	v_mul_f16_sdwa v13, v2, v6 dst_sel:DWORD dst_unused:UNUSED_PAD src0_sel:DWORD src1_sel:WORD_1
	;; [unrolled: 1-line block ×8, first 2 shown]
	v_fma_f16 v12, v25, v7, -v12
	v_fma_f16 v13, v26, v6, -v13
	;; [unrolled: 1-line block ×4, first 2 shown]
	v_fma_f16 v3, v3, v7, v27
	v_fma_f16 v4, v4, v8, v28
	v_fma_f16 v2, v2, v6, v29
	v_fma_f16 v5, v5, v9, v30
	v_sub_f16_e32 v6, v12, v13
	v_sub_f16_e32 v7, v16, v17
	v_add_f16_e32 v9, v13, v17
	v_sub_f16_e32 v24, v13, v12
	v_sub_f16_e32 v25, v17, v16
	v_add_f16_e32 v26, v12, v16
	v_add_f16_e32 v27, v22, v13
	;; [unrolled: 1-line block ×4, first 2 shown]
	v_sub_f16_e32 v8, v3, v4
	v_sub_f16_e32 v23, v2, v5
	;; [unrolled: 1-line block ×7, first 2 shown]
	v_add_f16_e32 v2, v21, v2
	v_add_f16_e32 v6, v6, v7
	v_fma_f16 v7, v9, -0.5, v22
	v_add_f16_e32 v9, v24, v25
	v_fma_f16 v22, v26, -0.5, v22
	;; [unrolled: 2-line block ×3, first 2 shown]
	v_fma_f16 v21, v34, -0.5, v21
	v_sub_f16_e32 v33, v5, v4
	v_add_f16_e32 v24, v28, v29
	v_add_f16_e32 v2, v2, v3
	v_fma_f16 v3, v8, s12, v7
	v_fma_f16 v7, v8, s10, v7
	;; [unrolled: 1-line block ×4, first 2 shown]
	v_add_f16_e32 v12, v12, v16
	v_fma_f16 v16, v31, s10, v25
	v_fma_f16 v25, v31, s12, v25
	;; [unrolled: 1-line block ×4, first 2 shown]
	v_add_f16_e32 v26, v32, v33
	v_add_f16_e32 v2, v2, v4
	v_fma_f16 v3, v23, s7, v3
	v_fma_f16 v4, v23, s11, v7
	;; [unrolled: 1-line block ×7, first 2 shown]
	v_add_f16_e32 v12, v12, v17
	v_fma_f16 v17, v31, s11, v28
	v_add_f16_e32 v2, v2, v5
	v_fma_f16 v3, v6, s6, v3
	v_fma_f16 v4, v6, s6, v4
	v_fma_f16 v6, v9, s6, v8
	v_fma_f16 v8, v24, s6, v13
	v_fma_f16 v13, v26, s6, v21
	v_fma_f16 v5, v9, s6, v7
	v_fma_f16 v7, v24, s6, v16
	v_fma_f16 v9, v26, s6, v17
	v_pack_b32_f16 v2, v2, v12
	v_pack_b32_f16 v6, v13, v6
	;; [unrolled: 1-line block ×5, first 2 shown]
	ds_write2_b32 v11, v2, v6 offset0:38 offset1:49
	ds_write2_b32 v11, v4, v3 offset0:60 offset1:71
	ds_write_b32 v10, v5 offset:2376
.LBB0_17:
	s_or_b64 exec, exec, s[2:3]
	s_waitcnt lgkmcnt(0)
	; wave barrier
	s_waitcnt lgkmcnt(0)
	s_and_saveexec_b64 s[0:1], vcc
	s_cbranch_execz .LBB0_19
; %bb.18:
	v_mul_u32_u24_e32 v2, 10, v15
	v_lshlrev_b32_e32 v2, 2, v2
	global_load_dwordx2 v[12:13], v2, s[4:5] offset:208
	global_load_dwordx4 v[4:7], v2, s[4:5] offset:176
	global_load_dwordx4 v[8:11], v2, s[4:5] offset:192
	ds_read_b32 v15, v19
	ds_read2_b32 v[2:3], v18 offset1:165
	ds_read_b32 v22, v18 offset:2200
	ds_read_b32 v23, v20
	v_add_u32_e32 v19, 0x400, v18
	v_add_u32_e32 v20, 0x200, v18
	ds_read2_b32 v[16:17], v19 offset0:184 offset1:239
	ds_read2_b32 v[18:19], v19 offset0:74 offset1:129
	;; [unrolled: 1-line block ×3, first 2 shown]
	s_waitcnt lgkmcnt(4)
	v_lshrrev_b32_e32 v24, 16, v22
	v_lshrrev_b32_e32 v25, 16, v15
	s_waitcnt lgkmcnt(3)
	v_lshrrev_b32_e32 v26, 16, v23
	v_lshrrev_b32_e32 v27, 16, v3
	;; [unrolled: 3-line block ×3, first 2 shown]
	s_waitcnt lgkmcnt(0)
	v_lshrrev_b32_e32 v31, 16, v20
	s_movk_i32 s4, 0x3482
	v_lshrrev_b32_e32 v30, 16, v19
	s_mov_b32 s3, 0xb853
	v_lshrrev_b32_e32 v32, 16, v18
	s_movk_i32 s10, 0x3a0c
	v_lshrrev_b32_e32 v33, 16, v21
	s_mov_b32 s6, 0xbb47
	s_movk_i32 s11, 0x3beb
	s_mov_b32 s0, 0xbbad
	s_movk_i32 s1, 0x3abb
	;; [unrolled: 2-line block ×3, first 2 shown]
	s_mov_b32 s7, 0xb08e
	s_mov_b32 s13, 0xbbeb
	s_movk_i32 s12, 0x3853
	s_mov_b32 s14, 0xb482
	s_movk_i32 s15, 0x3b47
	s_waitcnt vmcnt(2)
	v_lshrrev_b32_e32 v35, 16, v13
	v_lshrrev_b32_e32 v34, 16, v12
	s_waitcnt vmcnt(1)
	v_mul_f16_sdwa v36, v4, v15 dst_sel:DWORD dst_unused:UNUSED_PAD src0_sel:WORD_1 src1_sel:DWORD
	v_mul_f16_e32 v38, v13, v22
	v_mul_f16_e32 v22, v35, v22
	v_mul_f16_sdwa v37, v4, v25 dst_sel:DWORD dst_unused:UNUSED_PAD src0_sel:WORD_1 src1_sel:DWORD
	v_mul_f16_sdwa v39, v5, v23 dst_sel:DWORD dst_unused:UNUSED_PAD src0_sel:WORD_1 src1_sel:DWORD
	;; [unrolled: 1-line block ×3, first 2 shown]
	v_mul_f16_e32 v41, v12, v17
	s_waitcnt vmcnt(0)
	v_lshrrev_b32_e32 v44, 16, v11
	v_fma_f16 v25, v4, v25, -v36
	v_mul_f16_e32 v17, v34, v17
	v_fma_f16 v13, v13, v24, -v22
	v_lshrrev_b32_e32 v43, 16, v10
	v_mul_f16_sdwa v45, v6, v3 dst_sel:DWORD dst_unused:UNUSED_PAD src0_sel:WORD_1 src1_sel:DWORD
	v_mul_f16_sdwa v46, v6, v27 dst_sel:DWORD dst_unused:UNUSED_PAD src0_sel:WORD_1 src1_sel:DWORD
	v_mul_f16_e32 v47, v11, v16
	v_fma_f16 v4, v4, v15, v37
	v_fma_f16 v15, v24, v35, v38
	v_fma_f16 v26, v5, v26, -v39
	v_fma_f16 v5, v5, v23, v40
	v_fma_f16 v23, v28, v34, v41
	v_mul_f16_e32 v16, v44, v16
	v_fma_f16 v12, v12, v28, -v17
	v_add_f16_e32 v28, v13, v25
	v_lshrrev_b32_e32 v42, 16, v9
	v_mul_f16_sdwa v48, v7, v20 dst_sel:DWORD dst_unused:UNUSED_PAD src0_sel:WORD_1 src1_sel:DWORD
	v_mul_f16_sdwa v49, v7, v31 dst_sel:DWORD dst_unused:UNUSED_PAD src0_sel:WORD_1 src1_sel:DWORD
	v_mul_f16_e32 v50, v10, v19
	v_fma_f16 v27, v6, v27, -v45
	v_fma_f16 v3, v6, v3, v46
	v_fma_f16 v6, v29, v44, v47
	v_mul_f16_e32 v19, v43, v19
	v_sub_f16_e32 v22, v4, v15
	v_fma_f16 v11, v11, v29, -v16
	v_add_f16_e32 v29, v12, v26
	v_mul_f16_e32 v35, 0xbbad, v28
	v_fma_f16 v31, v7, v31, -v48
	v_fma_f16 v7, v7, v20, v49
	v_fma_f16 v20, v30, v43, v50
	v_mul_f16_e32 v34, v42, v18
	v_sub_f16_e32 v17, v5, v23
	v_fma_f16 v10, v10, v30, -v19
	v_add_f16_e32 v30, v11, v27
	v_mul_f16_e32 v36, 0x3abb, v29
	v_fma_f16 v39, v22, s4, v35
	v_mul_f16_sdwa v51, v8, v21 dst_sel:DWORD dst_unused:UNUSED_PAD src0_sel:WORD_1 src1_sel:DWORD
	v_sub_f16_e32 v16, v3, v6
	v_fma_f16 v24, v9, v32, -v34
	v_add_f16_e32 v34, v10, v31
	v_mul_f16_e32 v37, 0xb93d, v30
	v_fma_f16 v40, v17, s3, v36
	v_add_f16_sdwa v39, v39, v2 dst_sel:DWORD dst_unused:UNUSED_PAD src0_sel:DWORD src1_sel:WORD_1
	v_sub_f16_e32 v19, v7, v20
	v_mul_f16_e32 v38, 0x36a6, v34
	v_fma_f16 v41, v16, s10, v37
	v_add_f16_e32 v39, v39, v40
	v_fma_f16 v40, v8, v33, -v51
	v_mul_f16_sdwa v33, v8, v33 dst_sel:DWORD dst_unused:UNUSED_PAD src0_sel:WORD_1 src1_sel:DWORD
	v_mul_f16_e32 v9, v9, v18
	v_fma_f16 v43, v19, s6, v38
	v_add_f16_e32 v39, v39, v41
	v_add_f16_e32 v41, v24, v40
	v_fma_f16 v8, v8, v21, v33
	v_fma_f16 v9, v32, v42, v9
	v_add_f16_e32 v39, v39, v43
	v_mul_f16_e32 v43, 0xb08e, v41
	v_sub_f16_e32 v18, v8, v9
	v_fma_f16 v21, v18, s11, v43
	v_sub_f16_e32 v33, v25, v13
	v_add_f16_e32 v21, v39, v21
	v_add_f16_e32 v32, v15, v4
	v_mul_f16_e32 v39, 0xb482, v33
	v_sub_f16_e32 v45, v26, v12
	v_fma_f16 v42, v32, s0, v39
	v_add_f16_e32 v44, v23, v5
	v_mul_f16_e32 v46, 0x3853, v45
	v_add_f16_e32 v42, v42, v2
	v_fma_f16 v47, v44, s1, v46
	v_sub_f16_e32 v48, v27, v11
	v_add_f16_e32 v42, v42, v47
	v_add_f16_e32 v47, v6, v3
	v_mul_f16_e32 v49, 0xba0c, v48
	v_fma_f16 v50, v47, s2, v49
	v_sub_f16_e32 v51, v31, v10
	v_add_f16_e32 v42, v42, v50
	v_add_f16_e32 v50, v20, v7
	v_mul_f16_e32 v52, 0x3b47, v51
	;; [unrolled: 5-line block ×3, first 2 shown]
	v_fma_f16 v56, v53, s7, v55
	v_add_f16_e32 v42, v42, v56
	v_mul_f16_e32 v56, 0xb93d, v28
	v_fma_f16 v57, v22, s10, v56
	v_mul_f16_e32 v58, 0xb08e, v29
	v_add_f16_sdwa v57, v57, v2 dst_sel:DWORD dst_unused:UNUSED_PAD src0_sel:DWORD src1_sel:WORD_1
	v_fma_f16 v59, v17, s13, v58
	v_add_f16_e32 v57, v57, v59
	v_mul_f16_e32 v59, 0x3abb, v30
	v_fma_f16 v60, v16, s12, v59
	v_add_f16_e32 v57, v57, v60
	v_mul_f16_e32 v60, 0xbbad, v34
	;; [unrolled: 3-line block ×4, first 2 shown]
	v_fma_f16 v63, v32, s2, v62
	v_mul_f16_e32 v64, 0x3beb, v45
	v_add_f16_e32 v63, v63, v2
	v_fma_f16 v65, v44, s7, v64
	v_add_f16_e32 v63, v63, v65
	v_mul_f16_e32 v65, 0xb853, v48
	v_fma_f16 v66, v47, s1, v65
	v_add_f16_e32 v63, v63, v66
	v_mul_f16_e32 v66, 0xb482, v51
	;; [unrolled: 3-line block ×4, first 2 shown]
	v_fma_f16 v69, v22, s11, v68
	v_mul_f16_e32 v70, 0xbbad, v29
	v_add_f16_sdwa v69, v69, v2 dst_sel:DWORD dst_unused:UNUSED_PAD src0_sel:DWORD src1_sel:WORD_1
	v_fma_f16 v71, v17, s14, v70
	v_add_f16_e32 v69, v69, v71
	v_mul_f16_e32 v71, 0x36a6, v30
	v_fma_f16 v72, v16, s6, v71
	v_add_f16_e32 v69, v69, v72
	v_mul_f16_e32 v72, 0x3abb, v34
	;; [unrolled: 3-line block ×4, first 2 shown]
	v_fma_f16 v75, v32, s7, v74
	v_mul_f16_e32 v76, 0x3482, v45
	v_add_f16_e32 v75, v75, v2
	v_fma_f16 v77, v44, s0, v76
	v_add_f16_e32 v75, v75, v77
	v_mul_f16_e32 v77, 0x3b47, v48
	v_fma_f16 v78, v47, s5, v77
	v_add_f16_e32 v75, v75, v78
	v_mul_f16_e32 v78, 0xb853, v51
	;; [unrolled: 3-line block ×4, first 2 shown]
	v_fma_f16 v81, v22, s15, v80
	v_mul_f16_e32 v82, 0xb93d, v29
	v_add_f16_sdwa v81, v81, v2 dst_sel:DWORD dst_unused:UNUSED_PAD src0_sel:DWORD src1_sel:WORD_1
	v_fma_f16 v83, v17, s10, v82
	v_add_f16_e32 v4, v4, v2
	v_add_f16_e32 v81, v81, v83
	v_mul_f16_e32 v83, 0xbbad, v30
	v_add_f16_e32 v4, v4, v5
	v_fma_f16 v84, v16, s14, v83
	v_add_f16_e32 v3, v4, v3
	v_add_f16_e32 v81, v81, v84
	v_mul_f16_e32 v84, 0xb08e, v34
	v_add_f16_e32 v3, v3, v7
	;; [unrolled: 5-line block ×4, first 2 shown]
	v_fma_f16 v87, v32, s5, v86
	v_mul_f16_e32 v88, 0xba0c, v45
	v_add_f16_e32 v3, v23, v3
	v_add_f16_e32 v87, v87, v2
	v_fma_f16 v89, v44, s2, v88
	v_add_f16_e32 v6, v15, v3
	v_add_f16_sdwa v3, v25, v2 dst_sel:DWORD dst_unused:UNUSED_PAD src0_sel:DWORD src1_sel:WORD_1
	v_add_f16_e32 v87, v87, v89
	v_mul_f16_e32 v89, 0x3482, v48
	v_add_f16_e32 v3, v3, v26
	v_fma_f16 v90, v47, s0, v89
	v_add_f16_e32 v3, v3, v27
	v_add_f16_e32 v87, v87, v90
	v_mul_f16_e32 v90, 0x3beb, v51
	v_add_f16_e32 v3, v3, v31
	v_fma_f16 v91, v50, s7, v90
	v_add_f16_e32 v3, v3, v40
	v_add_f16_e32 v87, v87, v91
	v_mul_f16_e32 v91, 0x3853, v54
	v_add_f16_e32 v3, v24, v3
	v_fma_f16 v92, v53, s1, v91
	v_mul_f16_e32 v28, 0x3abb, v28
	v_add_f16_e32 v3, v10, v3
	v_add_f16_e32 v87, v87, v92
	v_fma_f16 v92, v22, s12, v28
	v_mul_f16_e32 v29, 0x36a6, v29
	v_add_f16_e32 v3, v11, v3
	v_add_f16_sdwa v92, v92, v2 dst_sel:DWORD dst_unused:UNUSED_PAD src0_sel:DWORD src1_sel:WORD_1
	v_fma_f16 v93, v17, s15, v29
	v_mul_f16_e32 v30, 0xb08e, v30
	v_add_f16_e32 v3, v12, v3
	v_add_f16_e32 v92, v92, v93
	v_fma_f16 v93, v16, s11, v30
	v_mul_f16_e32 v34, 0xb93d, v34
	v_add_f16_e32 v7, v13, v3
	v_fma_f16 v3, v22, s14, v35
	v_add_f16_e32 v92, v92, v93
	v_fma_f16 v93, v19, s10, v34
	v_add_f16_sdwa v3, v3, v2 dst_sel:DWORD dst_unused:UNUSED_PAD src0_sel:DWORD src1_sel:WORD_1
	v_fma_f16 v4, v17, s12, v36
	s_mov_b32 s10, 0xba0c
	v_add_f16_e32 v3, v3, v4
	v_fma_f16 v4, v16, s10, v37
	v_add_f16_e32 v3, v3, v4
	v_fma_f16 v4, v19, s15, v38
	v_add_f16_e32 v3, v3, v4
	v_fma_f16 v4, v18, s13, v43
	v_add_f16_e32 v8, v3, v4
	v_fma_f16 v3, v32, s0, -v39
	v_add_f16_e32 v3, v3, v2
	v_fma_f16 v4, v44, s1, -v46
	v_add_f16_e32 v3, v3, v4
	v_fma_f16 v4, v47, s2, -v49
	v_add_f16_e32 v3, v3, v4
	v_fma_f16 v4, v50, s5, -v52
	v_add_f16_e32 v3, v3, v4
	v_fma_f16 v4, v53, s7, -v55
	v_add_f16_e32 v9, v3, v4
	v_fma_f16 v3, v22, s10, v56
	v_add_f16_sdwa v3, v3, v2 dst_sel:DWORD dst_unused:UNUSED_PAD src0_sel:DWORD src1_sel:WORD_1
	v_fma_f16 v4, v17, s11, v58
	v_add_f16_e32 v3, v3, v4
	v_fma_f16 v4, v16, s3, v59
	v_add_f16_e32 v3, v3, v4
	v_fma_f16 v4, v19, s14, v60
	v_add_f16_e32 v3, v3, v4
	v_fma_f16 v4, v18, s15, v61
	v_add_f16_e32 v10, v3, v4
	v_fma_f16 v3, v32, s2, -v62
	v_add_f16_e32 v3, v3, v2
	v_fma_f16 v4, v44, s7, -v64
	v_add_f16_e32 v3, v3, v4
	v_fma_f16 v4, v47, s1, -v65
	v_add_f16_e32 v3, v3, v4
	v_fma_f16 v4, v50, s0, -v66
	v_add_f16_e32 v3, v3, v4
	v_fma_f16 v4, v53, s5, -v67
	v_add_f16_e32 v11, v3, v4
	v_fma_f16 v3, v22, s13, v68
	v_add_f16_sdwa v3, v3, v2 dst_sel:DWORD dst_unused:UNUSED_PAD src0_sel:DWORD src1_sel:WORD_1
	v_fma_f16 v4, v17, s4, v70
	;; [unrolled: 20-line block ×4, first 2 shown]
	v_add_f16_e32 v3, v3, v4
	v_fma_f16 v4, v16, s13, v30
	v_mul_f16_e32 v41, 0xbbad, v41
	v_add_f16_e32 v3, v3, v4
	v_fma_f16 v4, v19, s10, v34
	v_add_f16_e32 v92, v92, v93
	v_fma_f16 v93, v18, s4, v41
	v_mul_f16_e32 v33, 0xb853, v33
	v_add_f16_e32 v3, v3, v4
	v_fma_f16 v4, v18, s14, v41
	v_add_f16_e32 v92, v92, v93
	v_fma_f16 v93, v32, s1, v33
	v_mul_f16_e32 v45, 0xbb47, v45
	v_add_f16_e32 v16, v3, v4
	v_fma_f16 v3, v32, s1, -v33
	v_add_f16_e32 v93, v93, v2
	v_mul_f16_e32 v48, 0xbbeb, v48
	v_add_f16_e32 v2, v3, v2
	v_fma_f16 v3, v44, s5, -v45
	v_fma_f16 v94, v44, s5, v45
	v_mul_f16_e32 v51, 0xba0c, v51
	v_add_f16_e32 v2, v2, v3
	v_fma_f16 v3, v47, s7, -v48
	v_add_f16_e32 v93, v93, v94
	v_fma_f16 v94, v47, s7, v48
	v_mul_f16_e32 v54, 0xb482, v54
	v_add_f16_e32 v2, v2, v3
	v_fma_f16 v3, v50, s2, -v51
	v_add_f16_e32 v93, v93, v94
	v_fma_f16 v94, v50, s2, v51
	v_add_f16_e32 v2, v2, v3
	v_fma_f16 v3, v53, s0, -v54
	v_add_f16_e32 v93, v93, v94
	v_fma_f16 v94, v53, s0, v54
	v_add_f16_e32 v17, v2, v3
	v_mad_u64_u32 v[2:3], s[0:1], s8, v14, 0
	v_mov_b32_e32 v4, v3
	v_mad_u64_u32 v[4:5], s[0:1], s9, v14, v[4:5]
	v_mov_b32_e32 v3, v4
	v_lshl_add_u64 v[2:3], v[2:3], 2, v[0:1]
	v_pack_b32_f16 v4, v6, v7
	v_add_u32_e32 v5, 55, v14
	global_store_dword v[2:3], v4, off
	v_mad_u64_u32 v[2:3], s[0:1], s8, v5, 0
	v_mov_b32_e32 v4, v3
	v_mad_u64_u32 v[4:5], s[0:1], s9, v5, v[4:5]
	v_add_f16_e32 v93, v93, v94
	v_mov_b32_e32 v3, v4
	v_lshl_add_u64 v[2:3], v[2:3], 2, v[0:1]
	v_pack_b32_f16 v4, v93, v92
	v_add_u32_e32 v5, 0x6e, v14
	global_store_dword v[2:3], v4, off
	v_mad_u64_u32 v[2:3], s[0:1], s8, v5, 0
	v_mov_b32_e32 v4, v3
	v_mad_u64_u32 v[4:5], s[0:1], s9, v5, v[4:5]
	v_mov_b32_e32 v3, v4
	v_lshl_add_u64 v[2:3], v[2:3], 2, v[0:1]
	v_pack_b32_f16 v4, v87, v81
	v_add_u32_e32 v5, 0xa5, v14
	global_store_dword v[2:3], v4, off
	v_mad_u64_u32 v[2:3], s[0:1], s8, v5, 0
	v_mov_b32_e32 v4, v3
	v_mad_u64_u32 v[4:5], s[0:1], s9, v5, v[4:5]
	;; [unrolled: 8-line block ×9, first 2 shown]
	v_mov_b32_e32 v3, v4
	v_lshl_add_u64 v[0:1], v[2:3], 2, v[0:1]
	v_pack_b32_f16 v2, v17, v16
	global_store_dword v[0:1], v2, off
.LBB0_19:
	s_endpgm
	.section	.rodata,"a",@progbits
	.p2align	6, 0x0
	.amdhsa_kernel fft_rtc_back_len605_factors_11_5_11_wgs_55_tpt_55_half_ip_CI_sbrr_dirReg
		.amdhsa_group_segment_fixed_size 0
		.amdhsa_private_segment_fixed_size 0
		.amdhsa_kernarg_size 88
		.amdhsa_user_sgpr_count 2
		.amdhsa_user_sgpr_dispatch_ptr 0
		.amdhsa_user_sgpr_queue_ptr 0
		.amdhsa_user_sgpr_kernarg_segment_ptr 1
		.amdhsa_user_sgpr_dispatch_id 0
		.amdhsa_user_sgpr_kernarg_preload_length 0
		.amdhsa_user_sgpr_kernarg_preload_offset 0
		.amdhsa_user_sgpr_private_segment_size 0
		.amdhsa_uses_dynamic_stack 0
		.amdhsa_enable_private_segment 0
		.amdhsa_system_sgpr_workgroup_id_x 1
		.amdhsa_system_sgpr_workgroup_id_y 0
		.amdhsa_system_sgpr_workgroup_id_z 0
		.amdhsa_system_sgpr_workgroup_info 0
		.amdhsa_system_vgpr_workitem_id 0
		.amdhsa_next_free_vgpr 95
		.amdhsa_next_free_sgpr 24
		.amdhsa_accum_offset 96
		.amdhsa_reserve_vcc 1
		.amdhsa_float_round_mode_32 0
		.amdhsa_float_round_mode_16_64 0
		.amdhsa_float_denorm_mode_32 3
		.amdhsa_float_denorm_mode_16_64 3
		.amdhsa_dx10_clamp 1
		.amdhsa_ieee_mode 1
		.amdhsa_fp16_overflow 0
		.amdhsa_tg_split 0
		.amdhsa_exception_fp_ieee_invalid_op 0
		.amdhsa_exception_fp_denorm_src 0
		.amdhsa_exception_fp_ieee_div_zero 0
		.amdhsa_exception_fp_ieee_overflow 0
		.amdhsa_exception_fp_ieee_underflow 0
		.amdhsa_exception_fp_ieee_inexact 0
		.amdhsa_exception_int_div_zero 0
	.end_amdhsa_kernel
	.text
.Lfunc_end0:
	.size	fft_rtc_back_len605_factors_11_5_11_wgs_55_tpt_55_half_ip_CI_sbrr_dirReg, .Lfunc_end0-fft_rtc_back_len605_factors_11_5_11_wgs_55_tpt_55_half_ip_CI_sbrr_dirReg
                                        ; -- End function
	.section	.AMDGPU.csdata,"",@progbits
; Kernel info:
; codeLenInByte = 8972
; NumSgprs: 30
; NumVgprs: 95
; NumAgprs: 0
; TotalNumVgprs: 95
; ScratchSize: 0
; MemoryBound: 0
; FloatMode: 240
; IeeeMode: 1
; LDSByteSize: 0 bytes/workgroup (compile time only)
; SGPRBlocks: 3
; VGPRBlocks: 11
; NumSGPRsForWavesPerEU: 30
; NumVGPRsForWavesPerEU: 95
; AccumOffset: 96
; Occupancy: 5
; WaveLimiterHint : 1
; COMPUTE_PGM_RSRC2:SCRATCH_EN: 0
; COMPUTE_PGM_RSRC2:USER_SGPR: 2
; COMPUTE_PGM_RSRC2:TRAP_HANDLER: 0
; COMPUTE_PGM_RSRC2:TGID_X_EN: 1
; COMPUTE_PGM_RSRC2:TGID_Y_EN: 0
; COMPUTE_PGM_RSRC2:TGID_Z_EN: 0
; COMPUTE_PGM_RSRC2:TIDIG_COMP_CNT: 0
; COMPUTE_PGM_RSRC3_GFX90A:ACCUM_OFFSET: 23
; COMPUTE_PGM_RSRC3_GFX90A:TG_SPLIT: 0
	.text
	.p2alignl 6, 3212836864
	.fill 256, 4, 3212836864
	.type	__hip_cuid_9e4f07cc383b44d9,@object ; @__hip_cuid_9e4f07cc383b44d9
	.section	.bss,"aw",@nobits
	.globl	__hip_cuid_9e4f07cc383b44d9
__hip_cuid_9e4f07cc383b44d9:
	.byte	0                               ; 0x0
	.size	__hip_cuid_9e4f07cc383b44d9, 1

	.ident	"AMD clang version 19.0.0git (https://github.com/RadeonOpenCompute/llvm-project roc-6.4.0 25133 c7fe45cf4b819c5991fe208aaa96edf142730f1d)"
	.section	".note.GNU-stack","",@progbits
	.addrsig
	.addrsig_sym __hip_cuid_9e4f07cc383b44d9
	.amdgpu_metadata
---
amdhsa.kernels:
  - .agpr_count:     0
    .args:
      - .actual_access:  read_only
        .address_space:  global
        .offset:         0
        .size:           8
        .value_kind:     global_buffer
      - .offset:         8
        .size:           8
        .value_kind:     by_value
      - .actual_access:  read_only
        .address_space:  global
        .offset:         16
        .size:           8
        .value_kind:     global_buffer
      - .actual_access:  read_only
        .address_space:  global
        .offset:         24
        .size:           8
        .value_kind:     global_buffer
      - .offset:         32
        .size:           8
        .value_kind:     by_value
      - .actual_access:  read_only
        .address_space:  global
        .offset:         40
        .size:           8
        .value_kind:     global_buffer
      - .actual_access:  read_only
        .address_space:  global
        .offset:         48
        .size:           8
        .value_kind:     global_buffer
      - .offset:         56
        .size:           4
        .value_kind:     by_value
      - .actual_access:  read_only
        .address_space:  global
        .offset:         64
        .size:           8
        .value_kind:     global_buffer
      - .actual_access:  read_only
        .address_space:  global
        .offset:         72
        .size:           8
        .value_kind:     global_buffer
      - .address_space:  global
        .offset:         80
        .size:           8
        .value_kind:     global_buffer
    .group_segment_fixed_size: 0
    .kernarg_segment_align: 8
    .kernarg_segment_size: 88
    .language:       OpenCL C
    .language_version:
      - 2
      - 0
    .max_flat_workgroup_size: 55
    .name:           fft_rtc_back_len605_factors_11_5_11_wgs_55_tpt_55_half_ip_CI_sbrr_dirReg
    .private_segment_fixed_size: 0
    .sgpr_count:     30
    .sgpr_spill_count: 0
    .symbol:         fft_rtc_back_len605_factors_11_5_11_wgs_55_tpt_55_half_ip_CI_sbrr_dirReg.kd
    .uniform_work_group_size: 1
    .uses_dynamic_stack: false
    .vgpr_count:     95
    .vgpr_spill_count: 0
    .wavefront_size: 64
amdhsa.target:   amdgcn-amd-amdhsa--gfx950
amdhsa.version:
  - 1
  - 2
...

	.end_amdgpu_metadata
